;; amdgpu-corpus repo=ROCm/rocFFT kind=compiled arch=gfx906 opt=O3
	.text
	.amdgcn_target "amdgcn-amd-amdhsa--gfx906"
	.amdhsa_code_object_version 6
	.protected	bluestein_single_fwd_len192_dim1_sp_op_CI_CI ; -- Begin function bluestein_single_fwd_len192_dim1_sp_op_CI_CI
	.globl	bluestein_single_fwd_len192_dim1_sp_op_CI_CI
	.p2align	8
	.type	bluestein_single_fwd_len192_dim1_sp_op_CI_CI,@function
bluestein_single_fwd_len192_dim1_sp_op_CI_CI: ; @bluestein_single_fwd_len192_dim1_sp_op_CI_CI
; %bb.0:
	s_load_dwordx4 s[16:19], s[4:5], 0x28
	v_lshrrev_b32_e32 v1, 4, v0
	v_lshl_or_b32 v62, s6, 3, v1
	v_mov_b32_e32 v63, 0
	s_waitcnt lgkmcnt(0)
	v_cmp_gt_u64_e32 vcc, s[16:17], v[62:63]
	s_and_saveexec_b64 s[0:1], vcc
	s_cbranch_execz .LBB0_2
; %bb.1:
	s_load_dwordx4 s[0:3], s[4:5], 0x18
	s_load_dwordx4 s[8:11], s[4:5], 0x0
	v_and_b32_e32 v76, 15, v0
	v_mov_b32_e32 v8, s19
	v_lshlrev_b32_e32 v78, 3, v76
	s_waitcnt lgkmcnt(0)
	s_load_dwordx4 s[12:15], s[0:1], 0x0
	s_add_u32 s6, s8, 0x600
	s_addc_u32 s7, s9, 0
	global_load_dwordx2 v[46:47], v78, s[8:9]
	v_mov_b32_e32 v74, 0xfffffb80
	s_waitcnt lgkmcnt(0)
	v_mad_u64_u32 v[2:3], s[0:1], s14, v62, 0
	v_mad_u64_u32 v[4:5], s[0:1], s12, v76, 0
	v_mov_b32_e32 v0, v3
	v_mul_u32_u24_e32 v64, 0xc0, v1
	v_mov_b32_e32 v3, v5
	v_mad_u64_u32 v[5:6], s[0:1], s15, v62, v[0:1]
	v_mad_u64_u32 v[6:7], s[0:1], s13, v76, v[3:4]
	v_mov_b32_e32 v3, v5
	v_lshlrev_b64 v[2:3], 3, v[2:3]
	v_mov_b32_e32 v5, v6
	v_add_co_u32_e32 v0, vcc, s18, v2
	v_addc_co_u32_e32 v6, vcc, v8, v3, vcc
	v_lshlrev_b64 v[2:3], 3, v[4:5]
	s_lshl_b64 s[0:1], s[12:13], 8
	v_add_co_u32_e32 v2, vcc, v0, v2
	v_addc_co_u32_e32 v3, vcc, v6, v3, vcc
	global_load_dwordx2 v[4:5], v[2:3], off
	v_mov_b32_e32 v0, s1
	v_add_co_u32_e32 v2, vcc, s0, v2
	v_addc_co_u32_e32 v3, vcc, v3, v0, vcc
	global_load_dwordx2 v[6:7], v[2:3], off
	global_load_dwordx2 v[44:45], v78, s[8:9] offset:256
	v_add_co_u32_e32 v2, vcc, s0, v2
	v_addc_co_u32_e32 v3, vcc, v3, v0, vcc
	v_add_co_u32_e32 v8, vcc, s0, v2
	v_addc_co_u32_e32 v9, vcc, v3, v0, vcc
	v_add_co_u32_e32 v10, vcc, s0, v8
	global_load_dwordx2 v[42:43], v78, s[8:9] offset:512
	global_load_dwordx2 v[40:41], v78, s[8:9] offset:768
	v_addc_co_u32_e32 v11, vcc, v9, v0, vcc
	global_load_dwordx2 v[12:13], v[2:3], off
	global_load_dwordx2 v[14:15], v[8:9], off
	;; [unrolled: 1-line block ×3, first 2 shown]
	global_load_dwordx2 v[34:35], v78, s[8:9] offset:1024
	v_add_co_u32_e32 v2, vcc, s0, v10
	v_addc_co_u32_e32 v3, vcc, v11, v0, vcc
	global_load_dwordx2 v[8:9], v[2:3], off
	v_mad_u64_u32 v[2:3], s[14:15], s12, v74, v[2:3]
	s_mul_i32 s1, s13, 0xfffffb80
	global_load_dwordx2 v[38:39], v78, s[8:9] offset:1280
	s_sub_i32 s1, s1, s12
	v_add_u32_e32 v3, s1, v3
	global_load_dwordx2 v[10:11], v[2:3], off
	global_load_dwordx2 v[30:31], v78, s[8:9] offset:384
	global_load_dwordx2 v[36:37], v78, s[8:9] offset:128
	v_add_co_u32_e32 v2, vcc, s0, v2
	v_addc_co_u32_e32 v3, vcc, v3, v0, vcc
	global_load_dwordx2 v[18:19], v[2:3], off
	v_add_co_u32_e32 v2, vcc, s0, v2
	v_addc_co_u32_e32 v3, vcc, v3, v0, vcc
	global_load_dwordx2 v[20:21], v[2:3], off
	global_load_dwordx2 v[24:25], v78, s[8:9] offset:896
	global_load_dwordx2 v[32:33], v78, s[8:9] offset:640
	v_add_co_u32_e32 v2, vcc, s0, v2
	v_addc_co_u32_e32 v3, vcc, v3, v0, vcc
	global_load_dwordx2 v[22:23], v[2:3], off
	v_add_co_u32_e32 v2, vcc, s0, v2
	v_addc_co_u32_e32 v3, vcc, v3, v0, vcc
	global_load_dwordx2 v[51:52], v[2:3], off
	global_load_dwordx2 v[26:27], v78, s[8:9] offset:1408
	global_load_dwordx2 v[28:29], v78, s[8:9] offset:1152
	v_add_co_u32_e32 v2, vcc, s0, v2
	v_addc_co_u32_e32 v3, vcc, v3, v0, vcc
	global_load_dwordx2 v[2:3], v[2:3], off
	s_load_dwordx4 s[0:3], s[2:3], 0x0
	v_lshl_or_b32 v75, v64, 3, v78
	s_load_dwordx2 s[4:5], s[4:5], 0x38
	s_waitcnt lgkmcnt(0)
	v_mad_u64_u32 v[48:49], s[12:13], s2, v62, 0
	v_mov_b32_e32 v0, v49
	v_mad_u64_u32 v[49:50], s[2:3], s3, v62, v[0:1]
	v_or_b32_e32 v1, v64, v76
	v_lshlrev_b32_e32 v77, 3, v1
	v_or_b32_e32 v62, 16, v76
	s_waitcnt vmcnt(22)
	v_mul_f32_e32 v0, v5, v47
	v_mul_f32_e32 v1, v4, v47
	v_fmac_f32_e32 v0, v4, v46
	v_fma_f32 v1, v5, v46, -v1
	ds_write_b64 v77, v[0:1]
	s_waitcnt vmcnt(20)
	v_mul_f32_e32 v0, v7, v45
	v_mul_f32_e32 v1, v6, v45
	v_fmac_f32_e32 v0, v6, v44
	v_fma_f32 v1, v7, v44, -v1
	ds_write_b64 v77, v[0:1] offset:256
	s_waitcnt vmcnt(17)
	v_mul_f32_e32 v0, v13, v43
	v_mul_f32_e32 v1, v12, v43
	v_fmac_f32_e32 v0, v12, v42
	v_fma_f32 v1, v13, v42, -v1
	ds_write_b64 v75, v[0:1] offset:512
	;; [unrolled: 6-line block ×11, first 2 shown]
	s_waitcnt lgkmcnt(0)
	s_barrier
	ds_read2_b64 v[0:3], v77 offset1:16
	ds_read2_b64 v[4:7], v75 offset0:64 offset1:80
	ds_read2_b64 v[8:11], v75 offset0:128 offset1:144
	;; [unrolled: 1-line block ×5, first 2 shown]
	s_waitcnt lgkmcnt(4)
	v_add_f32_e32 v50, v0, v4
	s_waitcnt lgkmcnt(3)
	v_add_f32_e32 v56, v50, v8
	v_add_f32_e32 v50, v4, v8
	v_fma_f32 v0, -0.5, v50, v0
	v_sub_f32_e32 v50, v5, v9
	v_mov_b32_e32 v57, v0
	v_fmac_f32_e32 v57, 0x3f5db3d7, v50
	v_fmac_f32_e32 v0, 0xbf5db3d7, v50
	v_add_f32_e32 v50, v1, v5
	v_add_f32_e32 v5, v5, v9
	v_fma_f32 v1, -0.5, v5, v1
	v_sub_f32_e32 v4, v4, v8
	s_waitcnt lgkmcnt(0)
	v_add_f32_e32 v8, v16, v20
	v_mov_b32_e32 v5, v1
	v_fma_f32 v8, -0.5, v8, v12
	v_add_f32_e32 v59, v50, v9
	v_fmac_f32_e32 v5, 0xbf5db3d7, v4
	v_fmac_f32_e32 v1, 0x3f5db3d7, v4
	v_add_f32_e32 v4, v12, v16
	v_sub_f32_e32 v9, v17, v21
	v_mov_b32_e32 v12, v8
	v_fmac_f32_e32 v12, 0x3f5db3d7, v9
	v_fmac_f32_e32 v8, 0xbf5db3d7, v9
	v_add_f32_e32 v9, v13, v17
	v_add_f32_e32 v17, v17, v21
	v_fma_f32 v13, -0.5, v17, v13
	v_sub_f32_e32 v16, v16, v20
	v_add_f32_e32 v4, v4, v20
	v_mov_b32_e32 v17, v13
	v_fmac_f32_e32 v13, 0x3f5db3d7, v16
	v_mul_f32_e32 v20, -0.5, v8
	v_fmac_f32_e32 v17, 0xbf5db3d7, v16
	v_fmac_f32_e32 v20, 0x3f5db3d7, v13
	v_mul_f32_e32 v13, -0.5, v13
	v_mul_f32_e32 v16, 0x3f5db3d7, v17
	v_fmac_f32_e32 v13, 0xbf5db3d7, v8
	v_fmac_f32_e32 v16, 0.5, v12
	v_mul_f32_e32 v12, 0xbf5db3d7, v12
	v_add_f32_e32 v55, v1, v13
	v_sub_f32_e32 v61, v1, v13
	v_add_f32_e32 v1, v6, v10
	v_add_f32_e32 v9, v9, v21
	v_fmac_f32_e32 v12, 0.5, v17
	v_fma_f32 v1, -0.5, v1, v2
	v_add_f32_e32 v50, v56, v4
	v_add_f32_e32 v52, v57, v16
	;; [unrolled: 1-line block ×5, first 2 shown]
	v_sub_f32_e32 v56, v56, v4
	v_sub_f32_e32 v58, v57, v16
	;; [unrolled: 1-line block ×5, first 2 shown]
	v_add_f32_e32 v0, v2, v6
	v_sub_f32_e32 v2, v7, v11
	v_mov_b32_e32 v12, v1
	v_add_f32_e32 v4, v18, v22
	v_fmac_f32_e32 v12, 0x3f5db3d7, v2
	v_fmac_f32_e32 v1, 0xbf5db3d7, v2
	v_add_f32_e32 v2, v3, v7
	v_fma_f32 v9, -0.5, v4, v14
	v_add_f32_e32 v13, v2, v11
	v_add_f32_e32 v2, v7, v11
	v_sub_f32_e32 v4, v19, v23
	v_mov_b32_e32 v7, v9
	v_fmac_f32_e32 v7, 0x3f5db3d7, v4
	v_fmac_f32_e32 v9, 0xbf5db3d7, v4
	v_add_f32_e32 v4, v15, v19
	v_add_f32_e32 v11, v4, v23
	;; [unrolled: 1-line block ×3, first 2 shown]
	v_fmac_f32_e32 v15, -0.5, v4
	v_add_f32_e32 v0, v0, v10
	v_fmac_f32_e32 v3, -0.5, v2
	v_sub_f32_e32 v2, v6, v10
	v_sub_f32_e32 v4, v18, v22
	v_mov_b32_e32 v10, v15
	v_mov_b32_e32 v16, v3
	v_fmac_f32_e32 v10, 0xbf5db3d7, v4
	v_fmac_f32_e32 v16, 0xbf5db3d7, v2
	;; [unrolled: 1-line block ×3, first 2 shown]
	v_add_f32_e32 v2, v14, v18
	v_mul_f32_e32 v14, 0x3f5db3d7, v10
	v_add_f32_e32 v2, v2, v22
	v_fmac_f32_e32 v14, 0.5, v7
	v_mul_f32_e32 v18, 0xbf5db3d7, v7
	v_fmac_f32_e32 v15, 0x3f5db3d7, v4
	v_add_f32_e32 v4, v0, v2
	v_add_f32_e32 v6, v12, v14
	v_mul_f32_e32 v17, -0.5, v9
	v_fmac_f32_e32 v18, 0.5, v10
	v_sub_f32_e32 v10, v0, v2
	v_sub_f32_e32 v0, v12, v14
	v_mul_u32_u24_e32 v12, 6, v76
	v_fmac_f32_e32 v17, 0x3f5db3d7, v15
	v_mul_f32_e32 v15, -0.5, v15
	v_add_lshl_u32 v80, v64, v12, 3
	v_mul_u32_u24_e32 v12, 6, v62
	v_add_f32_e32 v5, v13, v11
	v_add_f32_e32 v7, v16, v18
	v_fmac_f32_e32 v15, 0xbf5db3d7, v9
	v_add_lshl_u32 v79, v64, v12, 3
	v_add_f32_e32 v8, v1, v17
	v_add_f32_e32 v9, v3, v15
	v_sub_f32_e32 v2, v1, v17
	v_sub_f32_e32 v11, v13, v11
	;; [unrolled: 1-line block ×4, first 2 shown]
	s_barrier
	ds_write_b128 v80, v[50:53]
	ds_write_b128 v80, v[54:57] offset:16
	ds_write_b128 v80, v[58:61] offset:32
	ds_write_b128 v79, v[4:7]
	ds_write_b128 v79, v[8:11] offset:16
	ds_write_b128 v79, v[0:3] offset:32
	v_mul_lo_u16_e32 v56, 43, v76
	v_mov_b32_e32 v10, 6
	v_mul_lo_u16_sdwa v0, v56, v10 dst_sel:DWORD dst_unused:UNUSED_PAD src0_sel:BYTE_1 src1_sel:DWORD
	v_sub_u16_e32 v57, v76, v0
	v_mul_lo_u16_e32 v0, 24, v57
	v_and_b32_e32 v0, 0xf8, v0
	v_mov_b32_e32 v60, s11
	v_add_co_u32_e32 v4, vcc, s10, v0
	v_addc_co_u32_e32 v5, vcc, 0, v60, vcc
	v_mul_lo_u16_e32 v61, 43, v62
	s_waitcnt lgkmcnt(0)
	s_barrier
	global_load_dwordx2 v[50:51], v[4:5], off offset:16
	global_load_dwordx4 v[0:3], v[4:5], off
	v_mul_lo_u16_sdwa v4, v61, v10 dst_sel:DWORD dst_unused:UNUSED_PAD src0_sel:BYTE_1 src1_sel:DWORD
	v_sub_u16_e32 v65, v62, v4
	v_mul_lo_u16_e32 v4, 24, v65
	v_or_b32_e32 v11, 32, v76
	v_and_b32_e32 v4, 0xf8, v4
	v_mul_lo_u16_e32 v66, 43, v11
	v_add_co_u32_e32 v8, vcc, s10, v4
	v_mul_lo_u16_sdwa v10, v66, v10 dst_sel:DWORD dst_unused:UNUSED_PAD src0_sel:BYTE_1 src1_sel:DWORD
	v_addc_co_u32_e32 v9, vcc, 0, v60, vcc
	v_sub_u16_e32 v67, v11, v10
	global_load_dwordx4 v[4:7], v[8:9], off
	v_mul_lo_u16_e32 v10, 24, v67
	v_and_b32_e32 v10, 0xf8, v10
	v_add_co_u32_e32 v10, vcc, s10, v10
	v_addc_co_u32_e32 v11, vcc, 0, v60, vcc
	global_load_dwordx4 v[12:15], v[10:11], off
	global_load_dwordx2 v[54:55], v[8:9], off offset:16
	global_load_dwordx2 v[52:53], v[10:11], off offset:16
	ds_read2_b64 v[8:11], v77 offset0:96 offset1:112
	ds_read2_b64 v[16:19], v77 offset0:128 offset1:144
	;; [unrolled: 1-line block ×3, first 2 shown]
	v_cmp_gt_u64_e32 vcc, 24, v[62:63]
	s_waitcnt vmcnt(4) lgkmcnt(2)
	v_mul_f32_e32 v58, v9, v3
	v_fma_f32 v58, v8, v2, -v58
	v_mul_f32_e32 v59, v8, v3
	s_waitcnt lgkmcnt(1)
	v_mul_f32_e32 v8, v19, v51
	v_fma_f32 v68, v18, v50, -v8
	v_fmac_f32_e32 v59, v9, v2
	s_waitcnt vmcnt(3)
	v_mul_f32_e32 v8, v11, v7
	v_fma_f32 v69, v10, v6, -v8
	s_waitcnt lgkmcnt(0)
	v_mul_f32_e32 v8, v21, v5
	v_mul_f32_e32 v70, v10, v7
	v_fma_f32 v71, v20, v4, -v8
	s_waitcnt vmcnt(2)
	v_mul_f32_e32 v8, v23, v13
	v_fmac_f32_e32 v70, v11, v6
	v_fma_f32 v73, v22, v12, -v8
	ds_read2_b64 v[8:11], v77 offset0:160 offset1:176
	v_mul_f32_e32 v72, v20, v5
	v_mul_f32_e32 v20, v18, v51
	v_mul_f32_e32 v18, v17, v15
	v_fma_f32 v83, v16, v14, -v18
	v_mul_f32_e32 v84, v16, v15
	s_waitcnt vmcnt(1) lgkmcnt(0)
	v_mul_f32_e32 v16, v9, v55
	v_fmac_f32_e32 v20, v19, v50
	v_fmac_f32_e32 v84, v17, v14
	v_fma_f32 v85, v8, v54, -v16
	ds_read2_b64 v[16:19], v77 offset0:32 offset1:48
	v_mul_f32_e32 v86, v8, v55
	s_waitcnt vmcnt(0)
	v_mul_f32_e32 v8, v11, v53
	v_mul_f32_e32 v88, v10, v53
	v_fmac_f32_e32 v86, v9, v54
	v_fma_f32 v87, v10, v52, -v8
	v_fmac_f32_e32 v88, v11, v52
	ds_read2_b64 v[8:11], v77 offset1:16
	v_fmac_f32_e32 v72, v21, v4
	s_waitcnt lgkmcnt(1)
	v_mul_f32_e32 v21, v19, v1
	v_fma_f32 v21, v18, v0, -v21
	v_mul_f32_e32 v18, v18, v1
	v_mul_f32_e32 v82, v22, v13
	v_fmac_f32_e32 v18, v19, v0
	s_waitcnt lgkmcnt(0)
	v_sub_f32_e32 v22, v8, v58
	v_sub_f32_e32 v58, v21, v68
	v_mov_b32_e32 v68, 24
	v_fmac_f32_e32 v82, v23, v12
	v_sub_f32_e32 v23, v9, v59
	v_sub_f32_e32 v20, v18, v20
	v_fma_f32 v19, v21, 2.0, -v58
	v_fma_f32 v21, v8, 2.0, -v22
	v_mul_lo_u16_sdwa v56, v56, v68 dst_sel:DWORD dst_unused:UNUSED_PAD src0_sel:BYTE_1 src1_sel:DWORD
	v_fma_f32 v18, v18, 2.0, -v20
	v_fma_f32 v59, v9, 2.0, -v23
	v_sub_f32_e32 v8, v21, v19
	v_or_b32_e32 v56, v56, v57
	v_sub_f32_e32 v9, v59, v18
	v_fma_f32 v18, v21, 2.0, -v8
	v_sub_f32_e32 v20, v22, v20
	v_add_f32_e32 v21, v23, v58
	v_and_b32_e32 v56, 0xff, v56
	v_fma_f32 v19, v59, 2.0, -v9
	v_fma_f32 v22, v22, 2.0, -v20
	;; [unrolled: 1-line block ×3, first 2 shown]
	v_add_lshl_u32 v81, v64, v56, 3
	v_sub_f32_e32 v58, v16, v83
	v_sub_f32_e32 v59, v17, v84
	s_barrier
	ds_write2_b64 v81, v[18:19], v[22:23] offset1:6
	ds_write2_b64 v81, v[8:9], v[20:21] offset0:12 offset1:18
	v_sub_f32_e32 v18, v10, v69
	v_sub_f32_e32 v19, v11, v70
	v_fma_f32 v22, v16, 2.0, -v58
	v_fma_f32 v23, v17, 2.0, -v59
	v_sub_f32_e32 v17, v71, v85
	v_sub_f32_e32 v16, v72, v86
	v_mul_lo_u16_sdwa v61, v61, v68 dst_sel:DWORD dst_unused:UNUSED_PAD src0_sel:BYTE_1 src1_sel:DWORD
	v_fma_f32 v10, v10, 2.0, -v18
	v_fma_f32 v11, v11, 2.0, -v19
	;; [unrolled: 1-line block ×4, first 2 shown]
	v_or_b32_e32 v61, v61, v65
	v_sub_f32_e32 v8, v10, v8
	v_sub_f32_e32 v9, v11, v9
	v_sub_f32_e32 v16, v18, v16
	v_add_f32_e32 v17, v19, v17
	v_sub_f32_e32 v56, v82, v88
	v_and_b32_e32 v61, 0xff, v61
	v_fma_f32 v10, v10, 2.0, -v8
	v_fma_f32 v11, v11, 2.0, -v9
	;; [unrolled: 1-line block ×5, first 2 shown]
	v_add_lshl_u32 v82, v64, v61, 3
	v_sub_f32_e32 v57, v73, v87
	ds_write2_b64 v82, v[10:11], v[18:19] offset1:6
	ds_write2_b64 v82, v[8:9], v[16:17] offset0:12 offset1:18
	v_mul_lo_u16_sdwa v8, v66, v68 dst_sel:DWORD dst_unused:UNUSED_PAD src0_sel:BYTE_1 src1_sel:DWORD
	v_mad_u64_u32 v[65:66], s[2:3], v76, 24, s[10:11]
	v_fma_f32 v20, v73, 2.0, -v57
	v_or_b32_e32 v8, v8, v67
	v_sub_f32_e32 v20, v22, v20
	v_sub_f32_e32 v21, v23, v21
	;; [unrolled: 1-line block ×3, first 2 shown]
	v_add_f32_e32 v57, v59, v57
	v_and_b32_e32 v8, 0xff, v8
	v_fma_f32 v22, v22, 2.0, -v20
	v_fma_f32 v23, v23, 2.0, -v21
	;; [unrolled: 1-line block ×4, first 2 shown]
	v_add_lshl_u32 v83, v64, v8, 3
	ds_write2_b64 v83, v[22:23], v[58:59] offset1:6
	ds_write2_b64 v83, v[20:21], v[56:57] offset0:12 offset1:18
	s_waitcnt lgkmcnt(0)
	s_barrier
	global_load_dwordx4 v[8:11], v[65:66], off offset:144
	v_add_u32_e32 v16, -8, v76
	v_cndmask_b32_e32 v73, v16, v62, vcc
	v_mul_i32_i24_e32 v17, 24, v73
	v_mul_hi_i32_i24_e32 v16, 24, v73
	v_add_co_u32_e32 v67, vcc, s10, v17
	v_addc_co_u32_e32 v68, vcc, v60, v16, vcc
	global_load_dwordx4 v[16:19], v[67:68], off offset:144
	global_load_dwordx4 v[20:23], v[65:66], off offset:336
	global_load_dwordx2 v[60:61], v[65:66], off offset:160
	global_load_dwordx2 v[58:59], v[67:68], off offset:160
	;; [unrolled: 1-line block ×3, first 2 shown]
	ds_read2_b64 v[65:68], v77 offset0:96 offset1:112
	v_cmp_lt_u64_e32 vcc, 23, v[62:63]
	s_mov_b32 s2, 0x55555555
	s_mov_b32 s3, 0x3f755555
	s_waitcnt vmcnt(5) lgkmcnt(0)
	v_mul_f32_e32 v69, v66, v11
	v_fma_f32 v84, v65, v10, -v69
	ds_read2_b64 v[69:72], v77 offset0:64 offset1:80
	v_mul_f32_e32 v85, v65, v11
	v_fmac_f32_e32 v85, v66, v10
	s_waitcnt vmcnt(4)
	v_mul_f32_e32 v65, v68, v19
	v_fma_f32 v88, v67, v18, -v65
	v_mul_f32_e32 v89, v67, v19
	s_waitcnt lgkmcnt(0)
	v_mul_f32_e32 v65, v70, v17
	v_fmac_f32_e32 v89, v68, v18
	v_fma_f32 v90, v69, v16, -v65
	ds_read2_b64 v[65:68], v77 offset0:128 offset1:144
	v_mul_f32_e32 v91, v69, v17
	s_waitcnt vmcnt(3)
	v_mul_f32_e32 v69, v72, v21
	v_fma_f32 v92, v71, v20, -v69
	v_fmac_f32_e32 v91, v70, v16
	s_waitcnt vmcnt(2) lgkmcnt(0)
	v_mul_f32_e32 v69, v68, v61
	v_mul_f32_e32 v87, v67, v61
	v_fma_f32 v86, v67, v60, -v69
	v_fmac_f32_e32 v87, v68, v60
	ds_read2_b64 v[67:70], v77 offset0:160 offset1:176
	v_mul_f32_e32 v93, v71, v21
	v_mul_f32_e32 v71, v66, v23
	v_fma_f32 v94, v65, v22, -v71
	v_mul_f32_e32 v95, v65, v23
	s_waitcnt vmcnt(1) lgkmcnt(0)
	v_mul_f32_e32 v65, v68, v59
	v_mul_f32_e32 v97, v67, v59
	v_fmac_f32_e32 v95, v66, v22
	v_fma_f32 v96, v67, v58, -v65
	v_fmac_f32_e32 v97, v68, v58
	ds_read2_b64 v[65:68], v77 offset0:32 offset1:48
	s_waitcnt vmcnt(0)
	v_mul_f32_e32 v71, v70, v57
	v_mul_f32_e32 v99, v69, v57
	v_fmac_f32_e32 v93, v72, v20
	v_fma_f32 v98, v69, v56, -v71
	v_fmac_f32_e32 v99, v70, v56
	ds_read2_b64 v[69:72], v77 offset1:16
	s_waitcnt lgkmcnt(1)
	v_mul_f32_e32 v100, v68, v9
	v_fma_f32 v100, v67, v8, -v100
	v_mul_f32_e32 v67, v67, v9
	v_fmac_f32_e32 v67, v68, v8
	s_waitcnt lgkmcnt(0)
	v_sub_f32_e32 v101, v69, v84
	v_sub_f32_e32 v102, v70, v85
	;; [unrolled: 1-line block ×4, first 2 shown]
	v_fma_f32 v68, v100, 2.0, -v85
	v_fma_f32 v86, v67, 2.0, -v84
	;; [unrolled: 1-line block ×4, first 2 shown]
	v_sub_f32_e32 v67, v69, v68
	v_sub_f32_e32 v68, v70, v86
	;; [unrolled: 1-line block ×3, first 2 shown]
	v_add_f32_e32 v85, v102, v85
	v_fma_f32 v69, v69, 2.0, -v67
	v_fma_f32 v70, v70, 2.0, -v68
	;; [unrolled: 1-line block ×4, first 2 shown]
	s_barrier
	ds_write2_b64 v77, v[69:70], v[86:87] offset1:24
	ds_write2_b64 v77, v[67:68], v[84:85] offset0:48 offset1:72
	v_sub_f32_e32 v84, v71, v88
	v_sub_f32_e32 v86, v72, v89
	v_fma_f32 v69, v71, 2.0, -v84
	v_fma_f32 v70, v72, 2.0, -v86
	v_mov_b32_e32 v87, 0x60
	v_sub_f32_e32 v72, v90, v96
	v_sub_f32_e32 v71, v91, v97
	v_fma_f32 v67, v90, 2.0, -v72
	v_fma_f32 v68, v91, 2.0, -v71
	v_cndmask_b32_e32 v62, 0, v87, vcc
	v_sub_f32_e32 v67, v69, v67
	v_sub_f32_e32 v68, v70, v68
	;; [unrolled: 1-line block ×3, first 2 shown]
	v_add_f32_e32 v72, v86, v72
	v_or_b32_e32 v62, v62, v73
	v_fma_f32 v69, v69, 2.0, -v67
	v_fma_f32 v70, v70, 2.0, -v68
	;; [unrolled: 1-line block ×4, first 2 shown]
	v_add_lshl_u32 v84, v64, v62, 3
	ds_write2_b64 v84, v[69:70], v[85:86] offset1:24
	ds_write2_b64 v84, v[67:68], v[71:72] offset0:48 offset1:72
	v_sub_f32_e32 v68, v65, v94
	v_sub_f32_e32 v69, v66, v95
	v_fma_f32 v64, v65, 2.0, -v68
	v_fma_f32 v65, v66, 2.0, -v69
	v_sub_f32_e32 v67, v92, v98
	v_sub_f32_e32 v66, v93, v99
	v_fma_f32 v62, v92, 2.0, -v67
	v_fma_f32 v63, v93, 2.0, -v66
	v_sub_f32_e32 v62, v64, v62
	v_sub_f32_e32 v63, v65, v63
	;; [unrolled: 1-line block ×3, first 2 shown]
	v_add_f32_e32 v67, v69, v67
	v_fma_f32 v64, v64, 2.0, -v62
	v_fma_f32 v65, v65, 2.0, -v63
	;; [unrolled: 1-line block ×4, first 2 shown]
	ds_write2_b64 v77, v[64:65], v[68:69] offset0:104 offset1:128
	ds_write2_b64 v77, v[62:63], v[66:67] offset0:152 offset1:176
	s_waitcnt lgkmcnt(0)
	s_barrier
	global_load_dwordx2 v[68:69], v78, s[10:11] offset:720
	global_load_dwordx2 v[66:67], v78, s[10:11] offset:848
	;; [unrolled: 1-line block ×6, first 2 shown]
	ds_read2_b64 v[85:88], v77 offset0:96 offset1:112
	s_waitcnt vmcnt(5) lgkmcnt(0)
	v_mul_f32_e32 v89, v86, v69
	v_fma_f32 v93, v85, v68, -v89
	ds_read2_b64 v[89:92], v77 offset0:128 offset1:144
	v_mul_f32_e32 v94, v85, v69
	s_waitcnt vmcnt(4)
	v_mul_f32_e32 v85, v88, v67
	v_fma_f32 v95, v87, v66, -v85
	v_mul_f32_e32 v96, v87, v67
	s_waitcnt vmcnt(3) lgkmcnt(0)
	v_mul_f32_e32 v85, v90, v65
	v_fmac_f32_e32 v94, v86, v68
	v_fmac_f32_e32 v96, v88, v66
	v_fma_f32 v101, v89, v64, -v85
	ds_read2_b64 v[85:88], v77 offset0:160 offset1:176
	v_mul_f32_e32 v102, v89, v65
	s_waitcnt vmcnt(2)
	v_mul_f32_e32 v89, v92, v63
	v_fma_f32 v103, v91, v62, -v89
	v_mul_f32_e32 v104, v91, v63
	s_waitcnt vmcnt(1) lgkmcnt(0)
	v_mul_f32_e32 v89, v86, v73
	v_fmac_f32_e32 v102, v90, v64
	v_fmac_f32_e32 v104, v92, v62
	v_fma_f32 v105, v85, v72, -v89
	ds_read2_b64 v[89:92], v77 offset1:16
	v_mul_f32_e32 v106, v85, v73
	s_waitcnt vmcnt(0)
	v_mul_f32_e32 v85, v88, v71
	v_mul_f32_e32 v108, v87, v71
	v_fmac_f32_e32 v106, v86, v72
	s_waitcnt lgkmcnt(0)
	v_sub_f32_e32 v93, v89, v93
	v_sub_f32_e32 v94, v90, v94
	;; [unrolled: 1-line block ×4, first 2 shown]
	v_fma_f32 v107, v87, v70, -v85
	v_fmac_f32_e32 v108, v88, v70
	ds_read2_b64 v[85:88], v77 offset0:32 offset1:48
	v_fma_f32 v97, v89, 2.0, -v93
	v_fma_f32 v98, v90, 2.0, -v94
	;; [unrolled: 1-line block ×4, first 2 shown]
	ds_read2_b64 v[89:92], v77 offset0:64 offset1:80
	s_waitcnt lgkmcnt(1)
	v_sub_f32_e32 v101, v85, v101
	v_sub_f32_e32 v102, v86, v102
	;; [unrolled: 1-line block ×4, first 2 shown]
	s_waitcnt lgkmcnt(0)
	v_sub_f32_e32 v105, v89, v105
	v_sub_f32_e32 v106, v90, v106
	;; [unrolled: 1-line block ×4, first 2 shown]
	v_fma_f32 v85, v85, 2.0, -v101
	v_fma_f32 v86, v86, 2.0, -v102
	;; [unrolled: 1-line block ×8, first 2 shown]
	ds_write_b64 v77, v[97:98]
	ds_write_b64 v75, v[93:94] offset:768
	ds_write_b64 v77, v[99:100] offset:128
	;; [unrolled: 1-line block ×6, first 2 shown]
	ds_write2_b64 v75, v[103:104], v[105:106] offset0:144 offset1:160
	ds_write2_b64 v75, v[89:90], v[91:92] offset0:64 offset1:80
	ds_write_b64 v75, v[107:108] offset:1408
	s_waitcnt lgkmcnt(0)
	s_barrier
	global_load_dwordx2 v[85:86], v78, s[6:7] offset:256
	global_load_dwordx2 v[89:90], v78, s[6:7] offset:512
	;; [unrolled: 1-line block ×12, first 2 shown]
	ds_read_b64 v[87:88], v77 offset:256
	ds_read_b64 v[109:110], v77
	s_waitcnt vmcnt(11) lgkmcnt(1)
	v_mul_f32_e32 v78, v88, v86
	v_mul_f32_e32 v114, v87, v86
	v_fma_f32 v113, v87, v85, -v78
	v_fmac_f32_e32 v114, v88, v85
	ds_write_b64 v77, v[113:114] offset:256
	ds_read2_b64 v[85:88], v77 offset0:64 offset1:96
	s_waitcnt vmcnt(10) lgkmcnt(0)
	v_mul_f32_e32 v78, v86, v90
	v_mul_f32_e32 v114, v85, v90
	v_fma_f32 v113, v85, v89, -v78
	v_fmac_f32_e32 v114, v86, v89
	s_waitcnt vmcnt(9)
	v_mul_f32_e32 v78, v88, v92
	v_mul_f32_e32 v86, v87, v92
	v_fma_f32 v85, v87, v91, -v78
	v_fmac_f32_e32 v86, v88, v91
	s_waitcnt vmcnt(8)
	v_mul_f32_e32 v78, v110, v94
	v_mul_f32_e32 v88, v109, v94
	v_fma_f32 v87, v109, v93, -v78
	v_fmac_f32_e32 v88, v110, v93
	ds_write2_b64 v77, v[113:114], v[85:86] offset0:64 offset1:96
	ds_write_b64 v77, v[87:88]
	ds_read_b64 v[85:86], v75 offset:1024
	ds_read_b64 v[87:88], v75 offset:1280
	s_waitcnt vmcnt(7) lgkmcnt(1)
	v_mul_f32_e32 v78, v86, v96
	v_mul_f32_e32 v90, v85, v96
	v_fma_f32 v89, v85, v95, -v78
	v_fmac_f32_e32 v90, v86, v95
	s_waitcnt vmcnt(6) lgkmcnt(0)
	v_mul_f32_e32 v78, v88, v98
	v_mul_f32_e32 v86, v87, v98
	v_fma_f32 v85, v87, v97, -v78
	v_fmac_f32_e32 v86, v88, v97
	ds_write_b64 v75, v[89:90] offset:1024
	ds_write_b64 v75, v[85:86] offset:1280
	ds_read_b64 v[85:86], v77 offset:128
	ds_read_b64 v[87:88], v77 offset:384
	s_waitcnt vmcnt(4) lgkmcnt(1)
	v_mul_f32_e32 v78, v86, v102
	v_mul_f32_e32 v90, v85, v102
	v_fma_f32 v89, v85, v101, -v78
	v_fmac_f32_e32 v90, v86, v101
	s_waitcnt lgkmcnt(0)
	v_mul_f32_e32 v78, v88, v100
	v_mul_f32_e32 v86, v87, v100
	v_fma_f32 v85, v87, v99, -v78
	v_fmac_f32_e32 v86, v88, v99
	ds_write_b64 v77, v[89:90] offset:128
	ds_write_b64 v77, v[85:86] offset:384
	ds_read_b64 v[85:86], v75 offset:640
	s_waitcnt vmcnt(2) lgkmcnt(0)
	v_mul_f32_e32 v78, v86, v106
	v_mul_f32_e32 v88, v85, v106
	v_fma_f32 v87, v85, v105, -v78
	v_fmac_f32_e32 v88, v86, v105
	ds_write_b64 v75, v[87:88] offset:640
	ds_read_b64 v[85:86], v77 offset:896
	s_waitcnt lgkmcnt(0)
	v_mul_f32_e32 v78, v86, v104
	v_mul_f32_e32 v88, v85, v104
	v_fma_f32 v87, v85, v103, -v78
	v_fmac_f32_e32 v88, v86, v103
	ds_write_b64 v77, v[87:88] offset:896
	ds_read_b64 v[85:86], v75 offset:1152
	ds_read_b64 v[87:88], v75 offset:1408
	s_waitcnt vmcnt(0) lgkmcnt(1)
	v_mul_f32_e32 v78, v86, v112
	v_mul_f32_e32 v90, v85, v112
	v_fma_f32 v89, v85, v111, -v78
	v_fmac_f32_e32 v90, v86, v111
	s_waitcnt lgkmcnt(0)
	v_mul_f32_e32 v78, v88, v108
	v_mul_f32_e32 v86, v87, v108
	v_fma_f32 v85, v87, v107, -v78
	v_fmac_f32_e32 v86, v88, v107
	ds_write_b64 v75, v[89:90] offset:1152
	ds_write_b64 v75, v[85:86] offset:1408
	s_waitcnt lgkmcnt(0)
	s_barrier
	ds_read2_b64 v[85:88], v77 offset1:16
	ds_read2_b64 v[89:92], v77 offset0:64 offset1:96
	ds_read2_b64 v[93:96], v75 offset0:80 offset1:128
	;; [unrolled: 1-line block ×4, first 2 shown]
	s_waitcnt lgkmcnt(3)
	v_add_f32_e32 v78, v85, v89
	s_waitcnt lgkmcnt(1)
	v_add_f32_e32 v111, v98, v92
	s_waitcnt lgkmcnt(0)
	v_sub_f32_e32 v110, v92, v104
	v_add_f32_e32 v92, v92, v104
	v_add_f32_e32 v109, v91, v103
	v_fma_f32 v98, -0.5, v92, v98
	v_add_f32_e32 v105, v89, v95
	v_sub_f32_e32 v106, v90, v96
	v_add_f32_e32 v107, v86, v90
	v_add_f32_e32 v90, v90, v96
	v_sub_f32_e32 v108, v89, v95
	v_add_f32_e32 v89, v97, v91
	v_sub_f32_e32 v112, v91, v103
	v_fma_f32 v97, -0.5, v109, v97
	v_mov_b32_e32 v92, v98
	v_mov_b32_e32 v91, v97
	v_fmac_f32_e32 v92, 0x3f5db3d7, v112
	v_fma_f32 v105, -0.5, v105, v85
	v_fma_f32 v115, -0.5, v90, v86
	v_fmac_f32_e32 v91, 0xbf5db3d7, v110
	v_mul_f32_e32 v109, 0xbf5db3d7, v92
	v_mul_f32_e32 v113, 0.5, v92
	v_mov_b32_e32 v114, v105
	v_mov_b32_e32 v116, v115
	v_fmac_f32_e32 v109, 0.5, v91
	v_fmac_f32_e32 v113, 0x3f5db3d7, v91
	v_add_f32_e32 v78, v78, v95
	v_fmac_f32_e32 v114, 0xbf5db3d7, v106
	v_add_f32_e32 v107, v107, v96
	;; [unrolled: 2-line block ×3, first 2 shown]
	v_add_f32_e32 v104, v111, v104
	v_add_f32_e32 v89, v78, v103
	;; [unrolled: 1-line block ×5, first 2 shown]
	ds_read_b64 v[85:86], v77 offset:896
	ds_read_b64 v[95:96], v75 offset:1408
	v_fmac_f32_e32 v98, 0xbf5db3d7, v112
	s_waitcnt lgkmcnt(0)
	s_barrier
	ds_write_b128 v80, v[89:92]
	v_sub_f32_e32 v91, v78, v103
	v_fmac_f32_e32 v97, 0x3f5db3d7, v110
	v_mul_f32_e32 v78, 0xbf5db3d7, v98
	v_mul_f32_e32 v98, -0.5, v98
	v_fmac_f32_e32 v105, 0x3f5db3d7, v106
	v_fmac_f32_e32 v115, 0xbf5db3d7, v108
	v_fmac_f32_e32 v78, -0.5, v97
	v_fmac_f32_e32 v98, 0x3f5db3d7, v97
	v_sub_f32_e32 v92, v107, v104
	v_add_f32_e32 v89, v105, v78
	v_add_f32_e32 v90, v115, v98
	ds_write_b128 v80, v[89:92] offset:16
	v_sub_f32_e32 v89, v114, v109
	v_sub_f32_e32 v91, v105, v78
	v_sub_f32_e32 v90, v116, v113
	v_sub_f32_e32 v92, v115, v98
	ds_write_b128 v80, v[89:92] offset:32
	v_sub_f32_e32 v98, v86, v96
	v_add_f32_e32 v92, v100, v86
	v_add_f32_e32 v86, v86, v96
	;; [unrolled: 1-line block ×5, first 2 shown]
	v_fmac_f32_e32 v100, -0.5, v86
	v_add_f32_e32 v80, v93, v101
	v_sub_f32_e32 v97, v94, v102
	v_add_f32_e32 v94, v89, v102
	v_add_f32_e32 v89, v99, v85
	v_sub_f32_e32 v85, v85, v95
	v_fmac_f32_e32 v88, -0.5, v90
	v_fma_f32 v86, -0.5, v91, v99
	v_mov_b32_e32 v90, v100
	v_add_f32_e32 v78, v87, v93
	v_add_f32_e32 v95, v89, v95
	v_mov_b32_e32 v89, v86
	v_fmac_f32_e32 v90, 0x3f5db3d7, v85
	v_fma_f32 v80, -0.5, v80, v87
	v_sub_f32_e32 v93, v93, v101
	v_add_f32_e32 v78, v78, v101
	v_fmac_f32_e32 v89, 0xbf5db3d7, v98
	v_mul_f32_e32 v99, 0xbf5db3d7, v90
	v_mul_f32_e32 v101, 0.5, v90
	v_mov_b32_e32 v87, v80
	v_mov_b32_e32 v102, v88
	v_fmac_f32_e32 v100, 0xbf5db3d7, v85
	v_add_f32_e32 v96, v92, v96
	v_fmac_f32_e32 v99, 0.5, v89
	v_fmac_f32_e32 v101, 0x3f5db3d7, v89
	v_fmac_f32_e32 v87, 0xbf5db3d7, v97
	;; [unrolled: 1-line block ×3, first 2 shown]
	v_mul_f32_e32 v103, 0xbf5db3d7, v100
	v_mul_f32_e32 v85, -0.5, v100
	v_fmac_f32_e32 v86, 0x3f5db3d7, v98
	v_add_f32_e32 v89, v78, v95
	v_add_f32_e32 v91, v87, v99
	v_add_f32_e32 v90, v94, v96
	v_add_f32_e32 v92, v102, v101
	v_fmac_f32_e32 v80, 0x3f5db3d7, v97
	v_fmac_f32_e32 v88, 0xbf5db3d7, v93
	v_fmac_f32_e32 v103, -0.5, v86
	v_fmac_f32_e32 v85, 0x3f5db3d7, v86
	ds_write_b128 v79, v[89:92]
	v_sub_f32_e32 v91, v78, v95
	v_sub_f32_e32 v92, v94, v96
	v_add_f32_e32 v89, v80, v103
	v_add_f32_e32 v90, v88, v85
	v_sub_f32_e32 v88, v88, v85
	v_sub_f32_e32 v85, v87, v99
	;; [unrolled: 1-line block ×4, first 2 shown]
	ds_write_b128 v79, v[89:92] offset:16
	ds_write_b128 v79, v[85:88] offset:32
	s_waitcnt lgkmcnt(0)
	s_barrier
	ds_read2_b64 v[85:88], v77 offset0:160 offset1:176
	ds_read2_b64 v[89:92], v77 offset0:128 offset1:144
	s_waitcnt lgkmcnt(1)
	v_mul_f32_e32 v78, v55, v86
	v_mul_f32_e32 v55, v55, v85
	v_fmac_f32_e32 v78, v54, v85
	v_fma_f32 v54, v54, v86, -v55
	v_mul_f32_e32 v55, v53, v88
	v_mul_f32_e32 v53, v53, v87
	s_waitcnt lgkmcnt(0)
	v_mul_f32_e32 v80, v51, v92
	v_mul_f32_e32 v51, v51, v91
	v_fmac_f32_e32 v55, v52, v87
	v_fma_f32 v79, v52, v88, -v53
	v_fmac_f32_e32 v80, v50, v91
	v_fma_f32 v85, v50, v92, -v51
	ds_read2_b64 v[50:53], v77 offset0:64 offset1:80
	v_mul_f32_e32 v86, v15, v90
	v_mul_f32_e32 v15, v15, v89
	v_fmac_f32_e32 v86, v14, v89
	v_fma_f32 v87, v14, v90, -v15
	s_waitcnt lgkmcnt(0)
	v_mul_f32_e32 v88, v13, v53
	v_mul_f32_e32 v13, v13, v52
	v_fmac_f32_e32 v88, v12, v52
	v_fma_f32 v52, v12, v53, -v13
	ds_read2_b64 v[12:15], v77 offset0:96 offset1:112
	v_mul_f32_e32 v53, v5, v51
	v_mul_f32_e32 v5, v5, v50
	v_fmac_f32_e32 v53, v4, v50
	v_fma_f32 v50, v4, v51, -v5
	s_waitcnt lgkmcnt(0)
	v_mul_f32_e32 v51, v7, v15
	v_mul_f32_e32 v4, v7, v14
	v_fmac_f32_e32 v51, v6, v14
	v_fma_f32 v89, v6, v15, -v4
	ds_read2_b64 v[4:7], v77 offset0:32 offset1:48
	v_mul_f32_e32 v90, v3, v13
	v_mul_f32_e32 v3, v3, v12
	v_fmac_f32_e32 v90, v2, v12
	v_fma_f32 v2, v2, v13, -v3
	ds_read2_b64 v[12:15], v77 offset1:16
	s_waitcnt lgkmcnt(1)
	v_mul_f32_e32 v3, v1, v7
	v_mul_f32_e32 v1, v1, v6
	v_fmac_f32_e32 v3, v0, v6
	v_fma_f32 v0, v0, v7, -v1
	s_waitcnt lgkmcnt(0)
	v_sub_f32_e32 v90, v12, v90
	v_sub_f32_e32 v91, v13, v2
	;; [unrolled: 1-line block ×4, first 2 shown]
	v_fma_f32 v1, v3, 2.0, -v7
	v_fma_f32 v2, v0, 2.0, -v6
	;; [unrolled: 1-line block ×4, first 2 shown]
	v_sub_f32_e32 v0, v3, v1
	v_sub_f32_e32 v1, v12, v2
	v_add_f32_e32 v6, v90, v6
	v_sub_f32_e32 v7, v91, v7
	v_fma_f32 v2, v3, 2.0, -v0
	v_fma_f32 v3, v12, 2.0, -v1
	;; [unrolled: 1-line block ×4, first 2 shown]
	s_barrier
	ds_write2_b64 v81, v[2:3], v[12:13] offset1:6
	ds_write2_b64 v81, v[0:1], v[6:7] offset0:12 offset1:18
	v_sub_f32_e32 v12, v14, v51
	v_sub_f32_e32 v13, v15, v89
	;; [unrolled: 1-line block ×4, first 2 shown]
	v_fma_f32 v2, v14, 2.0, -v12
	v_fma_f32 v3, v15, 2.0, -v13
	;; [unrolled: 1-line block ×4, first 2 shown]
	v_sub_f32_e32 v0, v2, v0
	v_sub_f32_e32 v1, v3, v1
	v_add_f32_e32 v6, v12, v6
	v_sub_f32_e32 v7, v13, v7
	v_fma_f32 v2, v2, 2.0, -v0
	v_fma_f32 v3, v3, 2.0, -v1
	;; [unrolled: 1-line block ×4, first 2 shown]
	ds_write2_b64 v82, v[2:3], v[12:13] offset1:6
	v_sub_f32_e32 v14, v4, v86
	v_sub_f32_e32 v15, v5, v87
	v_sub_f32_e32 v13, v88, v55
	v_sub_f32_e32 v12, v52, v79
	v_fma_f32 v4, v4, 2.0, -v14
	v_fma_f32 v5, v5, 2.0, -v15
	;; [unrolled: 1-line block ×4, first 2 shown]
	v_sub_f32_e32 v2, v4, v2
	v_sub_f32_e32 v3, v5, v3
	v_add_f32_e32 v12, v14, v12
	v_sub_f32_e32 v13, v15, v13
	v_fma_f32 v4, v4, 2.0, -v2
	v_fma_f32 v5, v5, 2.0, -v3
	;; [unrolled: 1-line block ×4, first 2 shown]
	ds_write2_b64 v82, v[0:1], v[6:7] offset0:12 offset1:18
	ds_write2_b64 v83, v[4:5], v[14:15] offset1:6
	ds_write2_b64 v83, v[2:3], v[12:13] offset0:12 offset1:18
	s_waitcnt lgkmcnt(0)
	s_barrier
	ds_read2_b64 v[0:3], v77 offset0:96 offset1:112
	ds_read2_b64 v[4:7], v77 offset1:16
	ds_read2_b64 v[12:15], v77 offset0:64 offset1:80
	s_waitcnt lgkmcnt(2)
	v_mul_f32_e32 v50, v11, v1
	v_fmac_f32_e32 v50, v10, v0
	v_mul_f32_e32 v0, v11, v0
	v_fma_f32 v51, v10, v1, -v0
	v_mul_f32_e32 v53, v19, v3
	v_mul_f32_e32 v0, v19, v2
	s_waitcnt lgkmcnt(0)
	v_mul_f32_e32 v52, v17, v13
	v_fmac_f32_e32 v53, v18, v2
	v_fma_f32 v18, v18, v3, -v0
	v_mul_f32_e32 v0, v17, v12
	v_fmac_f32_e32 v52, v16, v12
	v_fma_f32 v16, v16, v13, -v0
	ds_read2_b64 v[0:3], v77 offset0:128 offset1:144
	v_mul_f32_e32 v19, v21, v15
	v_mul_f32_e32 v10, v21, v14
	v_fmac_f32_e32 v19, v20, v14
	v_fma_f32 v20, v20, v15, -v10
	s_waitcnt lgkmcnt(0)
	v_mul_f32_e32 v21, v23, v1
	v_fmac_f32_e32 v21, v22, v0
	v_mul_f32_e32 v0, v23, v0
	v_fma_f32 v22, v22, v1, -v0
	ds_read2_b64 v[10:13], v77 offset0:32 offset1:48
	v_mul_f32_e32 v14, v61, v3
	v_mul_f32_e32 v0, v61, v2
	v_fmac_f32_e32 v14, v60, v2
	v_fma_f32 v15, v60, v3, -v0
	ds_read2_b64 v[0:3], v77 offset0:160 offset1:176
	s_waitcnt lgkmcnt(1)
	v_mul_f32_e32 v17, v9, v13
	v_fmac_f32_e32 v17, v8, v12
	v_mul_f32_e32 v9, v9, v12
	v_fma_f32 v8, v8, v13, -v9
	s_waitcnt lgkmcnt(0)
	v_mul_f32_e32 v12, v59, v1
	v_fmac_f32_e32 v12, v58, v0
	v_mul_f32_e32 v0, v59, v0
	v_fma_f32 v13, v58, v1, -v0
	v_mul_f32_e32 v23, v57, v3
	v_mul_f32_e32 v0, v57, v2
	v_sub_f32_e32 v9, v4, v50
	v_sub_f32_e32 v50, v5, v51
	v_fmac_f32_e32 v23, v56, v2
	v_fma_f32 v54, v56, v3, -v0
	v_fma_f32 v2, v4, 2.0, -v9
	v_fma_f32 v3, v5, 2.0, -v50
	v_sub_f32_e32 v5, v17, v14
	v_sub_f32_e32 v4, v8, v15
	v_fma_f32 v0, v17, 2.0, -v5
	v_fma_f32 v1, v8, 2.0, -v4
	v_add_f32_e32 v4, v9, v4
	v_sub_f32_e32 v5, v50, v5
	v_fma_f32 v8, v9, 2.0, -v4
	v_fma_f32 v9, v50, 2.0, -v5
	v_sub_f32_e32 v17, v6, v53
	v_sub_f32_e32 v50, v52, v12
	;; [unrolled: 1-line block ×3, first 2 shown]
	v_fma_f32 v14, v6, 2.0, -v17
	v_sub_f32_e32 v51, v16, v13
	v_fma_f32 v6, v52, 2.0, -v50
	v_fma_f32 v15, v7, 2.0, -v18
	;; [unrolled: 1-line block ×3, first 2 shown]
	v_sub_f32_e32 v6, v14, v6
	v_sub_f32_e32 v7, v15, v7
	v_fma_f32 v12, v14, 2.0, -v6
	v_add_f32_e32 v14, v17, v51
	v_sub_f32_e32 v51, v11, v22
	v_sub_f32_e32 v22, v19, v23
	v_sub_f32_e32 v23, v20, v54
	v_fma_f32 v13, v15, 2.0, -v7
	v_sub_f32_e32 v15, v18, v50
	v_sub_f32_e32 v50, v10, v21
	v_fma_f32 v21, v11, 2.0, -v51
	v_fma_f32 v11, v20, 2.0, -v23
	;; [unrolled: 1-line block ×6, first 2 shown]
	v_sub_f32_e32 v11, v21, v11
	v_sub_f32_e32 v0, v2, v0
	;; [unrolled: 1-line block ×4, first 2 shown]
	v_fma_f32 v19, v21, 2.0, -v11
	v_add_f32_e32 v20, v50, v23
	v_sub_f32_e32 v21, v51, v22
	v_fma_f32 v2, v2, 2.0, -v0
	v_fma_f32 v3, v3, 2.0, -v1
	;; [unrolled: 1-line block ×5, first 2 shown]
	s_barrier
	ds_write2_b64 v77, v[2:3], v[8:9] offset1:24
	ds_write2_b64 v77, v[0:1], v[4:5] offset0:48 offset1:72
	ds_write2_b64 v84, v[12:13], v[16:17] offset1:24
	ds_write2_b64 v84, v[6:7], v[14:15] offset0:48 offset1:72
	ds_write2_b64 v77, v[18:19], v[22:23] offset0:104 offset1:128
	;; [unrolled: 1-line block ×3, first 2 shown]
	s_waitcnt lgkmcnt(0)
	s_barrier
	ds_read2_b64 v[0:3], v77 offset1:16
	ds_read2_b64 v[4:7], v77 offset0:96 offset1:112
	ds_read2_b64 v[8:11], v77 offset0:32 offset1:48
	;; [unrolled: 1-line block ×5, first 2 shown]
	s_waitcnt lgkmcnt(4)
	v_mul_f32_e32 v50, v69, v5
	v_fmac_f32_e32 v50, v68, v4
	v_mul_f32_e32 v4, v69, v4
	v_fma_f32 v5, v68, v5, -v4
	v_mul_f32_e32 v4, v67, v6
	v_mul_f32_e32 v51, v67, v7
	v_fma_f32 v7, v66, v7, -v4
	s_waitcnt lgkmcnt(2)
	v_mul_f32_e32 v4, v65, v12
	v_mul_f32_e32 v52, v65, v13
	v_fma_f32 v13, v64, v13, -v4
	v_mul_f32_e32 v4, v63, v14
	v_mul_f32_e32 v53, v63, v15
	v_fma_f32 v15, v62, v15, -v4
	s_waitcnt lgkmcnt(0)
	v_mul_f32_e32 v4, v73, v20
	v_fmac_f32_e32 v51, v66, v6
	v_mul_f32_e32 v54, v73, v21
	v_fma_f32 v21, v72, v21, -v4
	v_mul_f32_e32 v55, v71, v23
	v_mul_f32_e32 v4, v71, v22
	v_fmac_f32_e32 v52, v64, v12
	v_fmac_f32_e32 v53, v62, v14
	;; [unrolled: 1-line block ×4, first 2 shown]
	v_fma_f32 v23, v70, v23, -v4
	v_sub_f32_e32 v4, v0, v50
	v_sub_f32_e32 v5, v1, v5
	;; [unrolled: 1-line block ×4, first 2 shown]
	v_fma_f32 v0, v0, 2.0, -v4
	v_fma_f32 v1, v1, 2.0, -v5
	;; [unrolled: 1-line block ×4, first 2 shown]
	v_sub_f32_e32 v12, v8, v52
	v_sub_f32_e32 v13, v9, v13
	;; [unrolled: 1-line block ×8, first 2 shown]
	v_fma_f32 v8, v8, 2.0, -v12
	v_fma_f32 v9, v9, 2.0, -v13
	v_fma_f32 v10, v10, 2.0, -v14
	v_fma_f32 v11, v11, 2.0, -v15
	v_fma_f32 v16, v16, 2.0, -v20
	v_fma_f32 v17, v17, 2.0, -v21
	v_fma_f32 v18, v18, 2.0, -v22
	v_fma_f32 v19, v19, 2.0, -v23
	ds_write_b64 v77, v[4:5] offset:768
	ds_write2_b64 v77, v[0:1], v[2:3] offset1:16
	ds_write_b64 v77, v[6:7] offset:896
	ds_write_b64 v77, v[8:9] offset:256
	;; [unrolled: 1-line block ×7, first 2 shown]
	ds_write2_b64 v75, v[20:21], v[22:23] offset0:160 offset1:176
	s_waitcnt lgkmcnt(0)
	s_barrier
	ds_read2_b64 v[0:3], v77 offset1:16
	v_mad_u64_u32 v[8:9], s[6:7], s0, v76, 0
	v_mov_b32_e32 v14, s5
	s_waitcnt lgkmcnt(0)
	v_mul_f32_e32 v4, v47, v1
	v_fmac_f32_e32 v4, v46, v0
	v_cvt_f64_f32_e32 v[4:5], v4
	v_mul_f32_e32 v0, v47, v0
	v_fma_f32 v0, v46, v1, -v0
	v_cvt_f64_f32_e32 v[0:1], v0
	v_mul_f64 v[4:5], v[4:5], s[2:3]
	v_mov_b32_e32 v6, v9
	v_mad_u64_u32 v[9:10], s[6:7], s1, v76, v[6:7]
	v_mul_f64 v[0:1], v[0:1], s[2:3]
	v_cvt_f32_f64_e32 v10, v[4:5]
	ds_read2_b64 v[4:7], v77 offset0:32 offset1:48
	v_cvt_f32_f64_e32 v11, v[0:1]
	v_lshlrev_b64 v[0:1], 3, v[48:49]
	s_waitcnt lgkmcnt(0)
	v_mul_f32_e32 v12, v45, v5
	v_fmac_f32_e32 v12, v44, v4
	v_mul_f32_e32 v4, v45, v4
	v_fma_f32 v4, v44, v5, -v4
	v_cvt_f64_f32_e32 v[12:13], v12
	v_cvt_f64_f32_e32 v[4:5], v4
	v_add_co_u32_e32 v15, vcc, s4, v0
	v_addc_co_u32_e32 v14, vcc, v14, v1, vcc
	v_lshlrev_b64 v[0:1], 3, v[8:9]
	v_mul_f64 v[12:13], v[12:13], s[2:3]
	v_mul_f64 v[4:5], v[4:5], s[2:3]
	v_add_co_u32_e32 v0, vcc, v15, v0
	v_addc_co_u32_e32 v1, vcc, v14, v1, vcc
	global_store_dwordx2 v[0:1], v[10:11], off
	ds_read2_b64 v[8:11], v77 offset0:64 offset1:96
	v_cvt_f32_f64_e32 v12, v[12:13]
	v_cvt_f32_f64_e32 v13, v[4:5]
	s_lshl_b64 s[4:5], s[0:1], 8
	v_mov_b32_e32 v20, s5
	s_waitcnt lgkmcnt(0)
	v_mul_f32_e32 v4, v43, v9
	v_fmac_f32_e32 v4, v42, v8
	v_mul_f32_e32 v8, v43, v8
	v_fma_f32 v8, v42, v9, -v8
	v_cvt_f64_f32_e32 v[4:5], v4
	v_cvt_f64_f32_e32 v[8:9], v8
	v_add_co_u32_e32 v0, vcc, s4, v0
	v_addc_co_u32_e32 v1, vcc, v1, v20, vcc
	global_store_dwordx2 v[0:1], v[12:13], off
	v_mul_f32_e32 v12, v41, v11
	v_mul_f64 v[4:5], v[4:5], s[2:3]
	v_mul_f64 v[8:9], v[8:9], s[2:3]
	v_fmac_f32_e32 v12, v40, v10
	v_cvt_f64_f32_e32 v[12:13], v12
	v_mul_f32_e32 v10, v41, v10
	v_fma_f32 v10, v40, v11, -v10
	v_cvt_f64_f32_e32 v[10:11], v10
	v_mul_f64 v[12:13], v[12:13], s[2:3]
	v_cvt_f32_f64_e32 v4, v[4:5]
	v_cvt_f32_f64_e32 v5, v[8:9]
	v_mul_f64 v[14:15], v[10:11], s[2:3]
	ds_read2_b64 v[8:11], v75 offset0:80 offset1:128
	v_add_co_u32_e32 v0, vcc, s4, v0
	v_addc_co_u32_e32 v1, vcc, v1, v20, vcc
	global_store_dwordx2 v[0:1], v[4:5], off
	v_cvt_f32_f64_e32 v4, v[12:13]
	s_waitcnt lgkmcnt(0)
	v_mul_f32_e32 v12, v35, v11
	v_fmac_f32_e32 v12, v34, v10
	v_mul_f32_e32 v10, v35, v10
	v_fma_f32 v10, v34, v11, -v10
	v_cvt_f32_f64_e32 v5, v[14:15]
	v_cvt_f64_f32_e32 v[14:15], v12
	v_cvt_f64_f32_e32 v[16:17], v10
	ds_read2_b64 v[10:13], v75 offset0:144 offset1:160
	v_add_co_u32_e32 v0, vcc, s4, v0
	v_mul_f64 v[14:15], v[14:15], s[2:3]
	v_mul_f64 v[16:17], v[16:17], s[2:3]
	s_waitcnt lgkmcnt(0)
	v_mul_f32_e32 v18, v39, v13
	v_fmac_f32_e32 v18, v38, v12
	v_mul_f32_e32 v12, v39, v12
	v_fma_f32 v12, v38, v13, -v12
	v_cvt_f64_f32_e32 v[12:13], v12
	v_cvt_f64_f32_e32 v[18:19], v18
	v_addc_co_u32_e32 v1, vcc, v1, v20, vcc
	v_mul_f64 v[12:13], v[12:13], s[2:3]
	global_store_dwordx2 v[0:1], v[4:5], off
	v_cvt_f32_f64_e32 v4, v[14:15]
	v_cvt_f32_f64_e32 v5, v[16:17]
	v_mul_f64 v[14:15], v[18:19], s[2:3]
	v_add_co_u32_e32 v0, vcc, s4, v0
	v_addc_co_u32_e32 v1, vcc, v1, v20, vcc
	global_store_dwordx2 v[0:1], v[4:5], off
	v_cvt_f32_f64_e32 v5, v[12:13]
	v_mul_f32_e32 v12, v37, v3
	v_fmac_f32_e32 v12, v36, v2
	v_mul_f32_e32 v2, v37, v2
	v_fma_f32 v2, v36, v3, -v2
	v_cvt_f64_f32_e32 v[12:13], v12
	v_cvt_f64_f32_e32 v[2:3], v2
	v_cvt_f32_f64_e32 v4, v[14:15]
	v_mul_f32_e32 v14, v31, v7
	v_mul_f64 v[12:13], v[12:13], s[2:3]
	v_mul_f64 v[2:3], v[2:3], s[2:3]
	v_fmac_f32_e32 v14, v30, v6
	v_mul_f32_e32 v6, v31, v6
	v_fma_f32 v6, v30, v7, -v6
	v_cvt_f64_f32_e32 v[6:7], v6
	v_add_co_u32_e32 v0, vcc, s4, v0
	v_addc_co_u32_e32 v1, vcc, v1, v20, vcc
	v_mul_f64 v[6:7], v[6:7], s[2:3]
	global_store_dwordx2 v[0:1], v[4:5], off
	v_mad_u64_u32 v[0:1], s[6:7], s0, v74, v[0:1]
	v_cvt_f64_f32_e32 v[14:15], v14
	v_cvt_f32_f64_e32 v4, v[12:13]
	v_cvt_f32_f64_e32 v5, v[2:3]
	s_mulk_i32 s1, 0xfb80
	s_sub_i32 s0, s1, s0
	v_add_u32_e32 v1, s0, v1
	v_mul_f64 v[12:13], v[14:15], s[2:3]
	global_store_dwordx2 v[0:1], v[4:5], off
	v_mul_f32_e32 v4, v33, v9
	v_fmac_f32_e32 v4, v32, v8
	v_cvt_f32_f64_e32 v3, v[6:7]
	v_cvt_f64_f32_e32 v[4:5], v4
	v_mul_f32_e32 v6, v33, v8
	v_fma_f32 v6, v32, v9, -v6
	ds_read_b64 v[8:9], v77 offset:896
	v_cvt_f64_f32_e32 v[6:7], v6
	v_mul_f64 v[4:5], v[4:5], s[2:3]
	v_cvt_f32_f64_e32 v2, v[12:13]
	ds_read_b64 v[12:13], v75 offset:1408
	s_waitcnt lgkmcnt(1)
	v_mul_f32_e32 v14, v25, v9
	v_fmac_f32_e32 v14, v24, v8
	v_mul_f64 v[6:7], v[6:7], s[2:3]
	v_cvt_f64_f32_e32 v[14:15], v14
	v_add_co_u32_e32 v0, vcc, s4, v0
	v_addc_co_u32_e32 v1, vcc, v1, v20, vcc
	global_store_dwordx2 v[0:1], v[2:3], off
	v_cvt_f32_f64_e32 v2, v[4:5]
	v_mul_f64 v[4:5], v[14:15], s[2:3]
	v_mul_f32_e32 v8, v25, v8
	v_fma_f32 v8, v24, v9, -v8
	v_cvt_f64_f32_e32 v[8:9], v8
	v_cvt_f32_f64_e32 v3, v[6:7]
	v_add_co_u32_e32 v0, vcc, s4, v0
	v_addc_co_u32_e32 v1, vcc, v1, v20, vcc
	v_mul_f64 v[8:9], v[8:9], s[2:3]
	global_store_dwordx2 v[0:1], v[2:3], off
	v_cvt_f32_f64_e32 v2, v[4:5]
	v_mul_f32_e32 v4, v29, v11
	v_fmac_f32_e32 v4, v28, v10
	v_cvt_f64_f32_e32 v[4:5], v4
	v_mul_f32_e32 v6, v29, v10
	v_fma_f32 v6, v28, v11, -v6
	v_cvt_f64_f32_e32 v[6:7], v6
	v_mul_f64 v[4:5], v[4:5], s[2:3]
	v_cvt_f32_f64_e32 v3, v[8:9]
	s_waitcnt lgkmcnt(0)
	v_mul_f32_e32 v8, v27, v13
	v_mul_f32_e32 v10, v27, v12
	v_fmac_f32_e32 v8, v26, v12
	v_fma_f32 v10, v26, v13, -v10
	v_mul_f64 v[6:7], v[6:7], s[2:3]
	v_cvt_f64_f32_e32 v[8:9], v8
	v_cvt_f64_f32_e32 v[10:11], v10
	v_add_co_u32_e32 v0, vcc, s4, v0
	v_addc_co_u32_e32 v1, vcc, v1, v20, vcc
	global_store_dwordx2 v[0:1], v[2:3], off
	v_cvt_f32_f64_e32 v2, v[4:5]
	v_mul_f64 v[4:5], v[8:9], s[2:3]
	v_mul_f64 v[8:9], v[10:11], s[2:3]
	v_cvt_f32_f64_e32 v3, v[6:7]
	v_add_co_u32_e32 v0, vcc, s4, v0
	v_addc_co_u32_e32 v1, vcc, v1, v20, vcc
	global_store_dwordx2 v[0:1], v[2:3], off
	v_cvt_f32_f64_e32 v2, v[4:5]
	v_cvt_f32_f64_e32 v3, v[8:9]
	v_add_co_u32_e32 v0, vcc, s4, v0
	v_addc_co_u32_e32 v1, vcc, v1, v20, vcc
	global_store_dwordx2 v[0:1], v[2:3], off
.LBB0_2:
	s_endpgm
	.section	.rodata,"a",@progbits
	.p2align	6, 0x0
	.amdhsa_kernel bluestein_single_fwd_len192_dim1_sp_op_CI_CI
		.amdhsa_group_segment_fixed_size 12288
		.amdhsa_private_segment_fixed_size 0
		.amdhsa_kernarg_size 104
		.amdhsa_user_sgpr_count 6
		.amdhsa_user_sgpr_private_segment_buffer 1
		.amdhsa_user_sgpr_dispatch_ptr 0
		.amdhsa_user_sgpr_queue_ptr 0
		.amdhsa_user_sgpr_kernarg_segment_ptr 1
		.amdhsa_user_sgpr_dispatch_id 0
		.amdhsa_user_sgpr_flat_scratch_init 0
		.amdhsa_user_sgpr_private_segment_size 0
		.amdhsa_uses_dynamic_stack 0
		.amdhsa_system_sgpr_private_segment_wavefront_offset 0
		.amdhsa_system_sgpr_workgroup_id_x 1
		.amdhsa_system_sgpr_workgroup_id_y 0
		.amdhsa_system_sgpr_workgroup_id_z 0
		.amdhsa_system_sgpr_workgroup_info 0
		.amdhsa_system_vgpr_workitem_id 0
		.amdhsa_next_free_vgpr 117
		.amdhsa_next_free_sgpr 20
		.amdhsa_reserve_vcc 1
		.amdhsa_reserve_flat_scratch 0
		.amdhsa_float_round_mode_32 0
		.amdhsa_float_round_mode_16_64 0
		.amdhsa_float_denorm_mode_32 3
		.amdhsa_float_denorm_mode_16_64 3
		.amdhsa_dx10_clamp 1
		.amdhsa_ieee_mode 1
		.amdhsa_fp16_overflow 0
		.amdhsa_exception_fp_ieee_invalid_op 0
		.amdhsa_exception_fp_denorm_src 0
		.amdhsa_exception_fp_ieee_div_zero 0
		.amdhsa_exception_fp_ieee_overflow 0
		.amdhsa_exception_fp_ieee_underflow 0
		.amdhsa_exception_fp_ieee_inexact 0
		.amdhsa_exception_int_div_zero 0
	.end_amdhsa_kernel
	.text
.Lfunc_end0:
	.size	bluestein_single_fwd_len192_dim1_sp_op_CI_CI, .Lfunc_end0-bluestein_single_fwd_len192_dim1_sp_op_CI_CI
                                        ; -- End function
	.section	.AMDGPU.csdata,"",@progbits
; Kernel info:
; codeLenInByte = 7536
; NumSgprs: 24
; NumVgprs: 117
; ScratchSize: 0
; MemoryBound: 0
; FloatMode: 240
; IeeeMode: 1
; LDSByteSize: 12288 bytes/workgroup (compile time only)
; SGPRBlocks: 2
; VGPRBlocks: 29
; NumSGPRsForWavesPerEU: 24
; NumVGPRsForWavesPerEU: 117
; Occupancy: 2
; WaveLimiterHint : 1
; COMPUTE_PGM_RSRC2:SCRATCH_EN: 0
; COMPUTE_PGM_RSRC2:USER_SGPR: 6
; COMPUTE_PGM_RSRC2:TRAP_HANDLER: 0
; COMPUTE_PGM_RSRC2:TGID_X_EN: 1
; COMPUTE_PGM_RSRC2:TGID_Y_EN: 0
; COMPUTE_PGM_RSRC2:TGID_Z_EN: 0
; COMPUTE_PGM_RSRC2:TIDIG_COMP_CNT: 0
	.type	__hip_cuid_ddec9883e7955840,@object ; @__hip_cuid_ddec9883e7955840
	.section	.bss,"aw",@nobits
	.globl	__hip_cuid_ddec9883e7955840
__hip_cuid_ddec9883e7955840:
	.byte	0                               ; 0x0
	.size	__hip_cuid_ddec9883e7955840, 1

	.ident	"AMD clang version 19.0.0git (https://github.com/RadeonOpenCompute/llvm-project roc-6.4.0 25133 c7fe45cf4b819c5991fe208aaa96edf142730f1d)"
	.section	".note.GNU-stack","",@progbits
	.addrsig
	.addrsig_sym __hip_cuid_ddec9883e7955840
	.amdgpu_metadata
---
amdhsa.kernels:
  - .args:
      - .actual_access:  read_only
        .address_space:  global
        .offset:         0
        .size:           8
        .value_kind:     global_buffer
      - .actual_access:  read_only
        .address_space:  global
        .offset:         8
        .size:           8
        .value_kind:     global_buffer
      - .actual_access:  read_only
        .address_space:  global
        .offset:         16
        .size:           8
        .value_kind:     global_buffer
      - .actual_access:  read_only
        .address_space:  global
        .offset:         24
        .size:           8
        .value_kind:     global_buffer
      - .actual_access:  read_only
        .address_space:  global
        .offset:         32
        .size:           8
        .value_kind:     global_buffer
      - .offset:         40
        .size:           8
        .value_kind:     by_value
      - .address_space:  global
        .offset:         48
        .size:           8
        .value_kind:     global_buffer
      - .address_space:  global
        .offset:         56
        .size:           8
        .value_kind:     global_buffer
      - .address_space:  global
        .offset:         64
        .size:           8
        .value_kind:     global_buffer
      - .address_space:  global
        .offset:         72
        .size:           8
        .value_kind:     global_buffer
      - .offset:         80
        .size:           4
        .value_kind:     by_value
      - .address_space:  global
        .offset:         88
        .size:           8
        .value_kind:     global_buffer
      - .address_space:  global
        .offset:         96
        .size:           8
        .value_kind:     global_buffer
    .group_segment_fixed_size: 12288
    .kernarg_segment_align: 8
    .kernarg_segment_size: 104
    .language:       OpenCL C
    .language_version:
      - 2
      - 0
    .max_flat_workgroup_size: 128
    .name:           bluestein_single_fwd_len192_dim1_sp_op_CI_CI
    .private_segment_fixed_size: 0
    .sgpr_count:     24
    .sgpr_spill_count: 0
    .symbol:         bluestein_single_fwd_len192_dim1_sp_op_CI_CI.kd
    .uniform_work_group_size: 1
    .uses_dynamic_stack: false
    .vgpr_count:     117
    .vgpr_spill_count: 0
    .wavefront_size: 64
amdhsa.target:   amdgcn-amd-amdhsa--gfx906
amdhsa.version:
  - 1
  - 2
...

	.end_amdgpu_metadata
